;; amdgpu-corpus repo=ROCm/bitsandbytes kind=harvested arch=n/a opt=n/a
	.text
	.amdgcn_target "amdgcn-amd-amdhsa--gfx1100"
	.amdhsa_code_object_version 6
	.protected	_Z33kPreconditionOptimizer32bit1StateI12hip_bfloat16Li4ELi4096ELi8EEvPT_S2_PfS3_ffffiffi ; -- Begin function _Z33kPreconditionOptimizer32bit1StateI12hip_bfloat16Li4ELi4096ELi8EEvPT_S2_PfS3_ffffiffi
	.globl	_Z33kPreconditionOptimizer32bit1StateI12hip_bfloat16Li4ELi4096ELi8EEvPT_S2_PfS3_ffffiffi
	.p2align	8
	.type	_Z33kPreconditionOptimizer32bit1StateI12hip_bfloat16Li4ELi4096ELi8EEvPT_S2_PfS3_ffffiffi,@function
_Z33kPreconditionOptimizer32bit1StateI12hip_bfloat16Li4ELi4096ELi8EEvPT_S2_PfS3_ffffiffi: ; @_Z33kPreconditionOptimizer32bit1StateI12hip_bfloat16Li4ELi4096ELi8EEvPT_S2_PfS3_ffffiffi
; %bb.0:
	s_clause 0x1
	s_load_b64 s[16:17], s[0:1], 0x38
	s_load_b32 s4, s[0:1], 0x4c
	s_mov_b32 s19, 0
	s_waitcnt lgkmcnt(0)
	s_ashr_i32 s2, s17, 31
	s_and_b32 s3, s17, 0xfff
	s_lshr_b32 s2, s2, 20
	s_delay_alu instid0(SALU_CYCLE_1) | instskip(NEXT) | instid1(SALU_CYCLE_1)
	s_add_i32 s2, s17, s2
	s_and_b32 s2, s2, 0xfffff000
	s_cmp_lg_u32 s3, 0
	s_cselect_b32 s3, -1, 0
	s_delay_alu instid0(SALU_CYCLE_1) | instskip(NEXT) | instid1(VALU_DEP_1)
	v_cndmask_b32_e64 v1, 0, 1, s3
	v_readfirstlane_b32 s3, v1
	s_delay_alu instid0(VALU_DEP_1) | instskip(NEXT) | instid1(SALU_CYCLE_1)
	s_lshl_b32 s11, s3, 12
	s_add_i32 s11, s11, s2
	s_add_u32 s2, s0, 64
	s_addc_u32 s3, s1, 0
	s_and_b32 s4, s4, 0xffff
	s_delay_alu instid0(SALU_CYCLE_1) | instskip(NEXT) | instid1(SALU_CYCLE_1)
	s_mul_i32 s15, s15, s4
	s_lshl_b32 s18, s15, 3
	s_delay_alu instid0(SALU_CYCLE_1)
	s_cmp_ge_u32 s18, s11
	s_cbranch_scc1 .LBB49_78
; %bb.1:
	s_clause 0x2
	s_load_b64 s[4:5], s[0:1], 0x0
	s_load_b128 s[12:15], s[0:1], 0x10
	s_load_b32 s20, s[0:1], 0x28
	v_lshlrev_b32_e32 v1, 3, v0
	v_mbcnt_lo_u32_b32 v2, -1, 0
	v_and_b32_e32 v30, 0x1e0, v0
	s_load_b32 s3, s[2:3], 0x0
	v_cmp_gt_u32_e64 s1, 16, v0
	v_and_b32_e32 v1, 0xf00, v1
	v_lshlrev_b32_e32 v3, 1, v2
	v_lshlrev_b32_e32 v35, 2, v2
	v_or_b32_e32 v12, v2, v30
	v_add_nc_u32_e32 v49, 1, v2
	v_lshlrev_b32_e32 v4, 1, v1
	v_or_b32_e32 v16, v2, v1
	v_lshrrev_b32_e32 v5, 5, v1
	v_lshlrev_b32_e32 v1, 2, v1
	v_add_nc_u32_e32 v51, 2, v2
	v_add_nc_u32_e32 v53, 4, v2
	v_or_b32_e32 v17, 32, v16
	v_or_b32_e32 v18, 64, v16
	s_waitcnt lgkmcnt(0)
	v_add_co_u32 v3, s0, s4, v3
	s_delay_alu instid0(VALU_DEP_1) | instskip(SKIP_1) | instid1(VALU_DEP_3)
	v_add_co_ci_u32_e64 v6, null, s5, 0, s0
	v_add_co_u32 v14, s0, s12, v35
	v_add_co_u32 v22, vcc_lo, v3, v4
	v_add_co_ci_u32_e64 v15, null, s13, 0, s0
	s_delay_alu instid0(VALU_DEP_4) | instskip(NEXT) | instid1(VALU_DEP_4)
	v_add_co_ci_u32_e32 v23, vcc_lo, 0, v6, vcc_lo
	v_add_co_u32 v37, vcc_lo, v14, v1
	s_delay_alu instid0(VALU_DEP_3)
	v_add_co_ci_u32_e32 v38, vcc_lo, 0, v15, vcc_lo
	v_cmp_ne_u32_e32 vcc_lo, 31, v2
	v_or_b32_e32 v19, 0x60, v16
	v_lshrrev_b32_e32 v7, 5, v17
	v_lshrrev_b32_e32 v8, 5, v18
	v_or_b32_e32 v20, 0x80, v16
	v_add_co_ci_u32_e32 v1, vcc_lo, 0, v2, vcc_lo
	v_lshrrev_b32_e32 v3, 5, v19
	v_cmp_gt_u32_e32 vcc_lo, 30, v2
	v_add_nc_u32_e32 v4, v5, v16
	v_and_b32_e32 v5, 0x78, v7
	v_add_nc_u32_e32 v6, v8, v18
	v_and_b32_e32 v8, 0x7a, v3
	v_add_lshl_u32 v42, v3, v19, 2
	v_cndmask_b32_e64 v3, 0, 1, vcc_lo
	v_cmp_gt_u32_e32 vcc_lo, 28, v2
	v_add_lshl_u32 v27, v5, v17, 1
	v_lshrrev_b32_e32 v5, 5, v20
	v_lshlrev_b32_e32 v48, 2, v1
	v_lshlrev_b32_e32 v26, 1, v4
	v_cndmask_b32_e64 v1, 0, 1, vcc_lo
	v_cmp_gt_u32_e32 vcc_lo, 24, v2
	v_add_nc_u32_e32 v5, v5, v20
	v_lshlrev_b32_e32 v39, 2, v4
	v_lshlrev_b32_e32 v3, 1, v3
	;; [unrolled: 1-line block ×3, first 2 shown]
	v_cndmask_b32_e64 v4, 0, 1, vcc_lo
	v_cmp_gt_u32_e32 vcc_lo, 16, v2
	v_lshlrev_b32_e32 v31, 1, v5
	v_lshlrev_b32_e32 v43, 2, v5
	v_add_lshl_u32 v52, v1, v2, 2
	v_add_lshl_u32 v50, v3, v2, 2
	v_cndmask_b32_e64 v5, 0, 1, vcc_lo
	v_lshlrev_b32_e32 v3, 3, v4
	v_or_b32_e32 v21, 0xa0, v16
	v_or_b32_e32 v25, 0xe0, v16
	v_add_lshl_u32 v29, v8, v19, 1
	v_lshlrev_b32_e32 v1, 4, v5
	v_add_lshl_u32 v54, v3, v2, 2
	v_lshrrev_b32_e32 v3, 3, v0
	v_lshrrev_b32_e32 v8, 5, v21
	v_or_b32_e32 v24, 0xc0, v16
	v_add_lshl_u32 v56, v1, v2, 2
	v_and_b32_e32 v1, 15, v2
	v_and_b32_e32 v58, 60, v3
	v_lshrrev_b32_e32 v10, 5, v25
	v_and_b32_e32 v11, 0x7c, v8
	v_lshlrev_b32_e32 v28, 1, v6
	v_cmp_ne_u32_e32 vcc_lo, 15, v1
	v_lshrrev_b32_e32 v9, 5, v24
	v_and_b32_e32 v13, 0x7e, v10
	v_add_lshl_u32 v32, v11, v21, 1
	v_bfe_u32 v11, v12, 2, 27
	v_add_co_ci_u32_e32 v3, vcc_lo, 0, v2, vcc_lo
	v_cmp_gt_u32_e32 vcc_lo, 14, v1
	v_lshlrev_b32_e32 v41, 2, v6
	v_add_nc_u32_e32 v9, v9, v24
	v_add_lshl_u32 v34, v13, v25, 1
	v_lshlrev_b32_e32 v12, 3, v12
	v_cndmask_b32_e64 v4, 0, 1, vcc_lo
	v_cmp_gt_u32_e32 vcc_lo, 12, v1
	v_and_b32_e32 v13, 0x7e, v11
	v_lshlrev_b32_e32 v60, 2, v3
	v_lshlrev_b32_e32 v33, 1, v9
	;; [unrolled: 1-line block ×3, first 2 shown]
	v_cndmask_b32_e64 v5, 0, 1, vcc_lo
	v_cmp_gt_u32_e32 vcc_lo, 8, v1
	v_add_lshl_u32 v36, v13, v12, 1
	v_add_lshl_u32 v40, v7, v17, 2
	;; [unrolled: 1-line block ×3, first 2 shown]
	v_lshlrev_b32_e32 v3, 2, v5
	v_cndmask_b32_e64 v6, 0, 1, vcc_lo
	v_lshlrev_b32_e32 v45, 2, v9
	v_add_lshl_u32 v46, v10, v25, 2
	v_add_lshl_u32 v47, v11, v12, 2
	v_add_nc_u32_e32 v55, 8, v2
	v_lshlrev_b32_e32 v5, 3, v6
	v_add_nc_u32_e32 v57, 16, v2
	v_cmp_eq_u32_e64 s0, 0, v2
	v_add_nc_u32_e32 v59, 1, v1
	v_add_nc_u32_e32 v61, 2, v1
	v_add_lshl_u32 v62, v4, v2, 2
	v_add_nc_u32_e32 v63, 4, v1
	v_add_lshl_u32 v64, v3, v2, 2
	v_add_nc_u32_e32 v65, 8, v1
	v_mov_b32_e32 v1, 0
	v_add_lshl_u32 v66, v5, v2, 2
	v_cmp_eq_u32_e64 s2, 0, v0
	s_lshl_b32 s12, s3, 12
	s_branch .LBB49_3
.LBB49_2:                               ;   in Loop: Header=BB49_3 Depth=1
	s_or_b32 exec_lo, exec_lo, s3
	s_add_i32 s18, s18, s12
	s_delay_alu instid0(SALU_CYCLE_1)
	s_cmp_ge_u32 s18, s11
	s_cbranch_scc1 .LBB49_78
.LBB49_3:                               ; =>This Loop Header: Depth=1
                                        ;     Child Loop BB49_66 Depth 2
                                        ;     Child Loop BB49_69 Depth 2
	s_sub_i32 s3, s17, s18
	s_lshl_b64 s[4:5], s[18:19], 1
	s_min_u32 s13, s3, 0x1000
	v_add_co_u32 v2, vcc_lo, v22, s4
	v_add_co_ci_u32_e32 v3, vcc_lo, s5, v23, vcc_lo
	v_cmp_gt_u32_e64 s9, s13, v16
	v_mov_b32_e32 v4, 0
	s_barrier
	buffer_gl0_inv
	s_and_saveexec_b32 s3, s9
	s_cbranch_execz .LBB49_5
; %bb.4:                                ;   in Loop: Header=BB49_3 Depth=1
	global_load_u16 v4, v[2:3], off
.LBB49_5:                               ;   in Loop: Header=BB49_3 Depth=1
	s_or_b32 exec_lo, exec_lo, s3
	v_cmp_gt_u32_e64 s7, s13, v17
	v_dual_mov_b32 v5, 0 :: v_dual_mov_b32 v6, 0
	s_delay_alu instid0(VALU_DEP_2)
	s_and_saveexec_b32 s3, s7
	s_cbranch_execz .LBB49_7
; %bb.6:                                ;   in Loop: Header=BB49_3 Depth=1
	global_load_u16 v6, v[2:3], off offset:64
.LBB49_7:                               ;   in Loop: Header=BB49_3 Depth=1
	s_or_b32 exec_lo, exec_lo, s3
	v_cmp_gt_u32_e64 s8, s13, v18
	s_delay_alu instid0(VALU_DEP_1)
	s_and_saveexec_b32 s3, s8
	s_cbranch_execz .LBB49_9
; %bb.8:                                ;   in Loop: Header=BB49_3 Depth=1
	global_load_u16 v5, v[2:3], off offset:128
.LBB49_9:                               ;   in Loop: Header=BB49_3 Depth=1
	s_or_b32 exec_lo, exec_lo, s3
	v_cmp_gt_u32_e64 s5, s13, v19
	v_dual_mov_b32 v7, 0 :: v_dual_mov_b32 v8, 0
	s_delay_alu instid0(VALU_DEP_2)
	s_and_saveexec_b32 s3, s5
	s_cbranch_execz .LBB49_11
; %bb.10:                               ;   in Loop: Header=BB49_3 Depth=1
	global_load_u16 v8, v[2:3], off offset:192
.LBB49_11:                              ;   in Loop: Header=BB49_3 Depth=1
	s_or_b32 exec_lo, exec_lo, s3
	v_cmp_gt_u32_e64 s6, s13, v20
	s_delay_alu instid0(VALU_DEP_1)
	s_and_saveexec_b32 s3, s6
	s_cbranch_execz .LBB49_13
; %bb.12:                               ;   in Loop: Header=BB49_3 Depth=1
	global_load_u16 v7, v[2:3], off offset:256
.LBB49_13:                              ;   in Loop: Header=BB49_3 Depth=1
	s_or_b32 exec_lo, exec_lo, s3
	v_cmp_gt_u32_e64 s3, s13, v21
	v_dual_mov_b32 v9, 0 :: v_dual_mov_b32 v10, 0
	s_delay_alu instid0(VALU_DEP_2)
	s_and_saveexec_b32 s4, s3
	s_cbranch_execz .LBB49_15
; %bb.14:                               ;   in Loop: Header=BB49_3 Depth=1
	global_load_u16 v10, v[2:3], off offset:320
.LBB49_15:                              ;   in Loop: Header=BB49_3 Depth=1
	s_or_b32 exec_lo, exec_lo, s4
	v_cmp_gt_u32_e64 s4, s13, v24
	s_delay_alu instid0(VALU_DEP_1)
	s_and_saveexec_b32 s10, s4
	s_cbranch_execz .LBB49_17
; %bb.16:                               ;   in Loop: Header=BB49_3 Depth=1
	global_load_u16 v9, v[2:3], off offset:384
.LBB49_17:                              ;   in Loop: Header=BB49_3 Depth=1
	s_or_b32 exec_lo, exec_lo, s10
	v_cmp_gt_u32_e32 vcc_lo, s13, v25
	v_dual_mov_b32 v0, 0 :: v_dual_mov_b32 v11, 0
	s_and_saveexec_b32 s10, vcc_lo
	s_cbranch_execz .LBB49_19
; %bb.18:                               ;   in Loop: Header=BB49_3 Depth=1
	global_load_u16 v11, v[2:3], off offset:448
.LBB49_19:                              ;   in Loop: Header=BB49_3 Depth=1
	s_or_b32 exec_lo, exec_lo, s10
	s_waitcnt vmcnt(0)
	ds_store_b16 v26, v4
	ds_store_b16 v27, v6
	;; [unrolled: 1-line block ×8, first 2 shown]
	; wave barrier
	ds_load_b128 v[10:13], v36
	s_lshl_b64 s[22:23], s[18:19], 2
	s_mov_b32 s24, s19
	s_mov_b32 s25, s19
	s_mov_b32 s26, s19
	s_mov_b32 s27, s19
	s_mov_b32 s28, s19
	s_mov_b32 s29, s19
	s_mov_b32 s30, s19
	s_mov_b32 s31, s19
	v_add_co_u32 v14, s10, v37, s22
	v_dual_mov_b32 v2, s24 :: v_dual_mov_b32 v3, s25
	v_add_co_ci_u32_e64 v15, s10, s23, v38, s10
	v_dual_mov_b32 v4, s26 :: v_dual_mov_b32 v5, s27
	v_dual_mov_b32 v6, s28 :: v_dual_mov_b32 v7, s29
	;; [unrolled: 1-line block ×3, first 2 shown]
	s_waitcnt lgkmcnt(0)
	s_barrier
	buffer_gl0_inv
	s_and_saveexec_b32 s10, s9
	s_cbranch_execnz .LBB49_71
; %bb.20:                               ;   in Loop: Header=BB49_3 Depth=1
	s_or_b32 exec_lo, exec_lo, s10
	s_and_saveexec_b32 s9, s7
	s_cbranch_execnz .LBB49_72
.LBB49_21:                              ;   in Loop: Header=BB49_3 Depth=1
	s_or_b32 exec_lo, exec_lo, s9
	s_and_saveexec_b32 s7, s8
	s_cbranch_execnz .LBB49_73
.LBB49_22:                              ;   in Loop: Header=BB49_3 Depth=1
	s_or_b32 exec_lo, exec_lo, s7
	s_and_saveexec_b32 s7, s5
	s_cbranch_execnz .LBB49_74
.LBB49_23:                              ;   in Loop: Header=BB49_3 Depth=1
	s_or_b32 exec_lo, exec_lo, s7
	s_and_saveexec_b32 s5, s6
	s_cbranch_execnz .LBB49_75
.LBB49_24:                              ;   in Loop: Header=BB49_3 Depth=1
	s_or_b32 exec_lo, exec_lo, s5
	s_and_saveexec_b32 s5, s3
	s_cbranch_execnz .LBB49_76
.LBB49_25:                              ;   in Loop: Header=BB49_3 Depth=1
	s_or_b32 exec_lo, exec_lo, s5
	s_and_saveexec_b32 s3, s4
	s_cbranch_execnz .LBB49_77
.LBB49_26:                              ;   in Loop: Header=BB49_3 Depth=1
	s_or_b32 exec_lo, exec_lo, s3
	s_and_saveexec_b32 s3, vcc_lo
	s_cbranch_execz .LBB49_28
.LBB49_27:                              ;   in Loop: Header=BB49_3 Depth=1
	global_load_b32 v9, v[14:15], off offset:896
.LBB49_28:                              ;   in Loop: Header=BB49_3 Depth=1
	s_or_b32 exec_lo, exec_lo, s3
	ds_store_b32 v39, v0
	s_waitcnt vmcnt(0)
	ds_store_b32 v40, v3
	ds_store_b32 v41, v4
	ds_store_b32 v42, v5
	ds_store_b32 v43, v6
	ds_store_b32 v44, v7
	ds_store_b32 v45, v8
	ds_store_b32 v46, v9
	; wave barrier
	ds_load_2addr_b32 v[8:9], v47 offset1:1
	ds_load_2addr_b32 v[6:7], v47 offset0:2 offset1:3
	ds_load_2addr_b32 v[4:5], v47 offset0:4 offset1:5
	;; [unrolled: 1-line block ×3, first 2 shown]
	v_lshlrev_b32_e32 v0, 16, v10
	s_delay_alu instid0(VALU_DEP_1) | instskip(NEXT) | instid1(VALU_DEP_1)
	v_mul_f32_e32 v0, s16, v0
	v_and_b32_e32 v14, 0x7f800000, v0
	s_delay_alu instid0(VALU_DEP_1) | instskip(SKIP_1) | instid1(SALU_CYCLE_1)
	v_cmp_ne_u32_e32 vcc_lo, 0x7f800000, v14
                                        ; implicit-def: $vgpr14
	s_and_saveexec_b32 s3, vcc_lo
	s_xor_b32 s3, exec_lo, s3
; %bb.29:                               ;   in Loop: Header=BB49_3 Depth=1
	v_bfe_u32 v14, v0, 16, 1
	s_delay_alu instid0(VALU_DEP_1)
	v_add3_u32 v14, v0, v14, 0x7fff
                                        ; implicit-def: $vgpr0
; %bb.30:                               ;   in Loop: Header=BB49_3 Depth=1
	s_and_not1_saveexec_b32 s3, s3
; %bb.31:                               ;   in Loop: Header=BB49_3 Depth=1
	v_and_b32_e32 v14, 0xffff, v0
	v_or_b32_e32 v15, 0x10000, v0
	s_delay_alu instid0(VALU_DEP_2) | instskip(NEXT) | instid1(VALU_DEP_2)
	v_cmp_eq_u32_e32 vcc_lo, 0, v14
	v_cndmask_b32_e32 v14, v15, v0, vcc_lo
; %bb.32:                               ;   in Loop: Header=BB49_3 Depth=1
	s_or_b32 exec_lo, exec_lo, s3
	v_and_b32_e32 v0, 0xffff0000, v10
	s_mov_b32 s3, exec_lo
                                        ; implicit-def: $vgpr67
	s_delay_alu instid0(VALU_DEP_1) | instskip(NEXT) | instid1(VALU_DEP_1)
	v_mul_f32_e32 v0, s16, v0
	v_and_b32_e32 v10, 0x7f800000, v0
	s_delay_alu instid0(VALU_DEP_1)
	v_cmpx_ne_u32_e32 0x7f800000, v10
	s_xor_b32 s3, exec_lo, s3
; %bb.33:                               ;   in Loop: Header=BB49_3 Depth=1
	v_bfe_u32 v10, v0, 16, 1
	s_delay_alu instid0(VALU_DEP_1)
	v_add3_u32 v67, v0, v10, 0x7fff
                                        ; implicit-def: $vgpr0
; %bb.34:                               ;   in Loop: Header=BB49_3 Depth=1
	s_and_not1_saveexec_b32 s3, s3
; %bb.35:                               ;   in Loop: Header=BB49_3 Depth=1
	v_and_b32_e32 v10, 0xffff, v0
	v_or_b32_e32 v15, 0x10000, v0
	s_delay_alu instid0(VALU_DEP_2) | instskip(NEXT) | instid1(VALU_DEP_2)
	v_cmp_eq_u32_e32 vcc_lo, 0, v10
	v_cndmask_b32_e32 v67, v15, v0, vcc_lo
; %bb.36:                               ;   in Loop: Header=BB49_3 Depth=1
	s_or_b32 exec_lo, exec_lo, s3
	v_lshlrev_b32_e32 v0, 16, v11
	s_mov_b32 s3, exec_lo
                                        ; implicit-def: $vgpr68
	s_delay_alu instid0(VALU_DEP_1) | instskip(NEXT) | instid1(VALU_DEP_1)
	v_mul_f32_e32 v0, s16, v0
	v_and_b32_e32 v10, 0x7f800000, v0
	s_delay_alu instid0(VALU_DEP_1)
	v_cmpx_ne_u32_e32 0x7f800000, v10
	s_xor_b32 s3, exec_lo, s3
; %bb.37:                               ;   in Loop: Header=BB49_3 Depth=1
	v_bfe_u32 v10, v0, 16, 1
	s_delay_alu instid0(VALU_DEP_1)
	v_add3_u32 v68, v0, v10, 0x7fff
                                        ; implicit-def: $vgpr0
; %bb.38:                               ;   in Loop: Header=BB49_3 Depth=1
	s_and_not1_saveexec_b32 s3, s3
; %bb.39:                               ;   in Loop: Header=BB49_3 Depth=1
	v_and_b32_e32 v10, 0xffff, v0
	v_or_b32_e32 v15, 0x10000, v0
	s_delay_alu instid0(VALU_DEP_2) | instskip(NEXT) | instid1(VALU_DEP_2)
	v_cmp_eq_u32_e32 vcc_lo, 0, v10
	v_cndmask_b32_e32 v68, v15, v0, vcc_lo
; %bb.40:                               ;   in Loop: Header=BB49_3 Depth=1
	s_or_b32 exec_lo, exec_lo, s3
	v_and_b32_e32 v0, 0xffff0000, v11
	s_mov_b32 s3, exec_lo
                                        ; implicit-def: $vgpr15
	s_delay_alu instid0(VALU_DEP_1) | instskip(NEXT) | instid1(VALU_DEP_1)
	v_mul_f32_e32 v0, s16, v0
	v_and_b32_e32 v10, 0x7f800000, v0
	s_delay_alu instid0(VALU_DEP_1)
	v_cmpx_ne_u32_e32 0x7f800000, v10
	s_xor_b32 s3, exec_lo, s3
; %bb.41:                               ;   in Loop: Header=BB49_3 Depth=1
	v_bfe_u32 v10, v0, 16, 1
	s_delay_alu instid0(VALU_DEP_1)
	v_add3_u32 v15, v0, v10, 0x7fff
                                        ; implicit-def: $vgpr0
; %bb.42:                               ;   in Loop: Header=BB49_3 Depth=1
	s_and_not1_saveexec_b32 s3, s3
; %bb.43:                               ;   in Loop: Header=BB49_3 Depth=1
	v_and_b32_e32 v10, 0xffff, v0
	v_or_b32_e32 v11, 0x10000, v0
	s_delay_alu instid0(VALU_DEP_2) | instskip(NEXT) | instid1(VALU_DEP_2)
	v_cmp_eq_u32_e32 vcc_lo, 0, v10
	v_cndmask_b32_e32 v15, v11, v0, vcc_lo
; %bb.44:                               ;   in Loop: Header=BB49_3 Depth=1
	s_or_b32 exec_lo, exec_lo, s3
	v_lshlrev_b32_e32 v0, 16, v12
	s_mov_b32 s3, exec_lo
                                        ; implicit-def: $vgpr69
	s_delay_alu instid0(VALU_DEP_1) | instskip(NEXT) | instid1(VALU_DEP_1)
	v_mul_f32_e32 v0, s16, v0
	v_and_b32_e32 v10, 0x7f800000, v0
	s_delay_alu instid0(VALU_DEP_1)
	v_cmpx_ne_u32_e32 0x7f800000, v10
	s_xor_b32 s3, exec_lo, s3
; %bb.45:                               ;   in Loop: Header=BB49_3 Depth=1
	v_bfe_u32 v10, v0, 16, 1
	s_delay_alu instid0(VALU_DEP_1)
	v_add3_u32 v69, v0, v10, 0x7fff
                                        ; implicit-def: $vgpr0
; %bb.46:                               ;   in Loop: Header=BB49_3 Depth=1
	s_and_not1_saveexec_b32 s3, s3
; %bb.47:                               ;   in Loop: Header=BB49_3 Depth=1
	v_and_b32_e32 v10, 0xffff, v0
	v_or_b32_e32 v11, 0x10000, v0
	s_delay_alu instid0(VALU_DEP_2) | instskip(NEXT) | instid1(VALU_DEP_2)
	v_cmp_eq_u32_e32 vcc_lo, 0, v10
	v_cndmask_b32_e32 v69, v11, v0, vcc_lo
; %bb.48:                               ;   in Loop: Header=BB49_3 Depth=1
	s_or_b32 exec_lo, exec_lo, s3
	v_and_b32_e32 v0, 0xffff0000, v12
	s_delay_alu instid0(VALU_DEP_1) | instskip(NEXT) | instid1(VALU_DEP_1)
	v_mul_f32_e32 v10, s16, v0
	v_and_b32_e32 v0, 0x7f800000, v10
	s_delay_alu instid0(VALU_DEP_1) | instskip(SKIP_1) | instid1(SALU_CYCLE_1)
	v_cmp_ne_u32_e32 vcc_lo, 0x7f800000, v0
                                        ; implicit-def: $vgpr0
	s_and_saveexec_b32 s3, vcc_lo
	s_xor_b32 s3, exec_lo, s3
; %bb.49:                               ;   in Loop: Header=BB49_3 Depth=1
	v_bfe_u32 v0, v10, 16, 1
	s_delay_alu instid0(VALU_DEP_1)
	v_add3_u32 v0, v10, v0, 0x7fff
                                        ; implicit-def: $vgpr10
; %bb.50:                               ;   in Loop: Header=BB49_3 Depth=1
	s_and_not1_saveexec_b32 s3, s3
; %bb.51:                               ;   in Loop: Header=BB49_3 Depth=1
	v_and_b32_e32 v0, 0xffff, v10
	v_or_b32_e32 v11, 0x10000, v10
	s_delay_alu instid0(VALU_DEP_2) | instskip(NEXT) | instid1(VALU_DEP_2)
	v_cmp_eq_u32_e32 vcc_lo, 0, v0
	v_cndmask_b32_e32 v0, v11, v10, vcc_lo
; %bb.52:                               ;   in Loop: Header=BB49_3 Depth=1
	s_or_b32 exec_lo, exec_lo, s3
	v_lshlrev_b32_e32 v10, 16, v13
	s_delay_alu instid0(VALU_DEP_1) | instskip(NEXT) | instid1(VALU_DEP_1)
	v_mul_f32_e32 v10, s16, v10
	v_and_b32_e32 v11, 0x7f800000, v10
	s_delay_alu instid0(VALU_DEP_1) | instskip(SKIP_1) | instid1(SALU_CYCLE_1)
	v_cmp_ne_u32_e32 vcc_lo, 0x7f800000, v11
                                        ; implicit-def: $vgpr11
	s_and_saveexec_b32 s3, vcc_lo
	s_xor_b32 s3, exec_lo, s3
; %bb.53:                               ;   in Loop: Header=BB49_3 Depth=1
	v_bfe_u32 v11, v10, 16, 1
	s_delay_alu instid0(VALU_DEP_1)
	v_add3_u32 v11, v10, v11, 0x7fff
                                        ; implicit-def: $vgpr10
; %bb.54:                               ;   in Loop: Header=BB49_3 Depth=1
	s_and_not1_saveexec_b32 s3, s3
; %bb.55:                               ;   in Loop: Header=BB49_3 Depth=1
	v_and_b32_e32 v11, 0xffff, v10
	v_or_b32_e32 v12, 0x10000, v10
	s_delay_alu instid0(VALU_DEP_2) | instskip(NEXT) | instid1(VALU_DEP_2)
	v_cmp_eq_u32_e32 vcc_lo, 0, v11
	v_cndmask_b32_e32 v11, v12, v10, vcc_lo
; %bb.56:                               ;   in Loop: Header=BB49_3 Depth=1
	s_or_b32 exec_lo, exec_lo, s3
	v_and_b32_e32 v10, 0xffff0000, v13
	s_delay_alu instid0(VALU_DEP_1) | instskip(NEXT) | instid1(VALU_DEP_1)
	v_mul_f32_e32 v12, s16, v10
	v_and_b32_e32 v10, 0x7f800000, v12
	s_delay_alu instid0(VALU_DEP_1) | instskip(SKIP_1) | instid1(SALU_CYCLE_1)
	v_cmp_ne_u32_e32 vcc_lo, 0x7f800000, v10
                                        ; implicit-def: $vgpr10
	s_and_saveexec_b32 s3, vcc_lo
	s_xor_b32 s3, exec_lo, s3
; %bb.57:                               ;   in Loop: Header=BB49_3 Depth=1
	v_bfe_u32 v10, v12, 16, 1
	s_delay_alu instid0(VALU_DEP_1)
	v_add3_u32 v10, v12, v10, 0x7fff
                                        ; implicit-def: $vgpr12
; %bb.58:                               ;   in Loop: Header=BB49_3 Depth=1
	s_and_not1_saveexec_b32 s3, s3
; %bb.59:                               ;   in Loop: Header=BB49_3 Depth=1
	v_and_b32_e32 v10, 0xffff, v12
	v_or_b32_e32 v13, 0x10000, v12
	s_delay_alu instid0(VALU_DEP_2) | instskip(NEXT) | instid1(VALU_DEP_2)
	v_cmp_eq_u32_e32 vcc_lo, 0, v10
	v_cndmask_b32_e32 v10, v13, v12, vcc_lo
; %bb.60:                               ;   in Loop: Header=BB49_3 Depth=1
	s_or_b32 exec_lo, exec_lo, s3
	v_and_b32_e32 v13, 0xffff0000, v67
	v_and_b32_e32 v12, 0xffff0000, v14
	;; [unrolled: 1-line block ×4, first 2 shown]
	s_waitcnt lgkmcnt(0)
	v_fmac_f32_e32 v9, v13, v13
	v_fma_f32 v8, v12, v12, v8
	v_fmac_f32_e32 v7, v15, v15
	v_fma_f32 v6, v14, v14, v6
	s_barrier
	s_delay_alu instid0(VALU_DEP_3)
	v_dual_mul_f32 v68, 0x4f800000, v9 :: v_dual_mul_f32 v67, 0x4f800000, v8
	v_cmp_gt_f32_e32 vcc_lo, 0xf800000, v8
	v_cmp_gt_f32_e64 s3, 0xf800000, v9
	v_cmp_gt_f32_e64 s4, 0xf800000, v6
	v_and_b32_e32 v69, 0xffff0000, v69
	buffer_gl0_inv
	v_cndmask_b32_e32 v8, v8, v67, vcc_lo
	v_cndmask_b32_e64 v9, v9, v68, s3
	v_and_b32_e32 v0, 0xffff0000, v0
	v_fma_f32 v4, v69, v69, v4
	v_and_b32_e32 v10, 0xffff0000, v10
	v_sqrt_f32_e32 v67, v8
	v_sqrt_f32_e32 v70, v9
	s_delay_alu instid0(VALU_DEP_2) | instskip(NEXT) | instid1(VALU_DEP_2)
	v_dual_mul_f32 v68, 0x4f800000, v6 :: v_dual_mul_f32 v77, 0x4f800000, v4
	v_fmac_f32_e32 v3, v10, v10
	v_fmac_f32_e32 v5, v0, v0
	s_waitcnt_depctr 0xfff
	v_add_nc_u32_e32 v71, -1, v67
	v_cndmask_b32_e64 v6, v6, v68, s4
	v_dual_mul_f32 v68, 0x4f800000, v7 :: v_dual_add_nc_u32 v73, -1, v70
	v_add_nc_u32_e32 v74, 1, v67
	s_delay_alu instid0(VALU_DEP_4)
	v_fma_f32 v76, -v71, v67, v8
	v_add_nc_u32_e32 v75, 1, v70
	v_sqrt_f32_e32 v72, v6
	v_fma_f32 v78, -v73, v70, v9
	v_fma_f32 v79, -v74, v67, v8
	v_cmp_ge_f32_e64 s5, 0, v76
	v_fma_f32 v80, -v75, v70, v9
	s_delay_alu instid0(VALU_DEP_2) | instskip(SKIP_1) | instid1(VALU_DEP_1)
	v_cndmask_b32_e64 v67, v67, v71, s5
	v_cmp_ge_f32_e64 s5, 0, v78
	v_cndmask_b32_e64 v70, v70, v73, s5
	v_cmp_lt_f32_e64 s5, 0, v79
	s_delay_alu instid0(VALU_DEP_1) | instskip(SKIP_1) | instid1(VALU_DEP_2)
	v_cndmask_b32_e64 v67, v67, v74, s5
	v_cmp_lt_f32_e64 s5, 0, v80
	v_mul_f32_e32 v73, 0x37800000, v67
	s_delay_alu instid0(VALU_DEP_2) | instskip(SKIP_2) | instid1(VALU_DEP_3)
	v_cndmask_b32_e64 v70, v70, v75, s5
	v_add_nc_u32_e32 v71, -1, v72
	v_cmp_gt_f32_e64 s5, 0xf800000, v7
	v_mul_f32_e32 v74, 0x37800000, v70
	s_delay_alu instid0(VALU_DEP_3) | instskip(NEXT) | instid1(VALU_DEP_3)
	v_fma_f32 v75, -v71, v72, v6
	v_cndmask_b32_e64 v7, v7, v68, s5
	v_add_nc_u32_e32 v68, 1, v72
	s_delay_alu instid0(VALU_DEP_4) | instskip(SKIP_1) | instid1(VALU_DEP_4)
	v_cndmask_b32_e64 v70, v70, v74, s3
	v_cmp_gt_f32_e64 s3, 0xf800000, v4
	v_sqrt_f32_e32 v76, v7
	v_cndmask_b32_e32 v67, v67, v73, vcc_lo
	v_cmp_ge_f32_e32 vcc_lo, 0, v75
	v_fma_f32 v78, -v68, v72, v6
	v_cndmask_b32_e64 v4, v4, v77, s3
	v_cndmask_b32_e32 v71, v72, v71, vcc_lo
	v_cmp_class_f32_e64 vcc_lo, v8, 0x260
	s_delay_alu instid0(TRANS32_DEP_1) | instskip(SKIP_2) | instid1(VALU_DEP_3)
	v_add_nc_u32_e32 v72, -1, v76
	v_cndmask_b32_e32 v8, v67, v8, vcc_lo
	v_cmp_class_f32_e64 vcc_lo, v9, 0x260
	v_fma_f32 v75, -v72, v76, v7
	s_delay_alu instid0(VALU_DEP_3) | instskip(SKIP_1) | instid1(VALU_DEP_3)
	v_dual_add_f32 v8, s20, v8 :: v_dual_cndmask_b32 v9, v70, v9
	v_cmp_lt_f32_e32 vcc_lo, 0, v78
	v_cmp_ge_f32_e64 s6, 0, v75
	s_delay_alu instid0(VALU_DEP_3) | instskip(SKIP_2) | instid1(VALU_DEP_4)
	v_div_scale_f32 v70, null, v8, v8, v12
	v_cndmask_b32_e32 v67, v71, v68, vcc_lo
	v_cmp_class_f32_e64 vcc_lo, v6, 0x260
	v_cndmask_b32_e64 v72, v76, v72, s6
	s_delay_alu instid0(VALU_DEP_4) | instskip(NEXT) | instid1(VALU_DEP_3)
	v_rcp_f32_e32 v73, v70
	v_mul_f32_e32 v68, 0x37800000, v67
	s_delay_alu instid0(VALU_DEP_1)
	v_cndmask_b32_e64 v67, v67, v68, s4
	v_add_nc_u32_e32 v68, 1, v76
	s_waitcnt_depctr 0xfff
	v_fma_f32 v79, -v70, v73, 1.0
	v_dual_cndmask_b32 v6, v67, v6 :: v_dual_add_f32 v9, s20, v9
	v_fma_f32 v77, -v68, v76, v7
	v_div_scale_f32 v78, vcc_lo, v12, v8, v12
	s_delay_alu instid0(VALU_DEP_4) | instskip(NEXT) | instid1(VALU_DEP_4)
	v_fmac_f32_e32 v73, v79, v73
	v_div_scale_f32 v71, null, v9, v9, v13
	v_sqrt_f32_e32 v67, v4
	v_cmp_lt_f32_e64 s6, 0, v77
	s_delay_alu instid0(VALU_DEP_3) | instskip(NEXT) | instid1(VALU_DEP_3)
	v_dual_mul_f32 v76, v78, v73 :: v_dual_and_b32 v11, 0xffff0000, v11
	v_rcp_f32_e32 v74, v71
	v_add_f32_e32 v6, s20, v6
	s_delay_alu instid0(VALU_DEP_3) | instskip(NEXT) | instid1(VALU_DEP_3)
	v_cndmask_b32_e64 v68, v72, v68, s6
	v_fma_f32 v2, v11, v11, v2
	v_fma_f32 v72, -v70, v76, v78
	s_delay_alu instid0(VALU_DEP_4) | instskip(NEXT) | instid1(VALU_DEP_2)
	v_div_scale_f32 v82, null, v6, v6, v14
	v_dual_mul_f32 v83, 0x37800000, v68 :: v_dual_fmac_f32 v76, v72, v73
	s_delay_alu instid0(TRANS32_DEP_1) | instskip(NEXT) | instid1(VALU_DEP_3)
	v_fma_f32 v80, -v71, v74, 1.0
	v_rcp_f32_e32 v75, v82
	v_add_nc_u32_e32 v72, 1, v67
	s_delay_alu instid0(VALU_DEP_3)
	v_cndmask_b32_e64 v68, v68, v83, s5
	v_cmp_class_f32_e64 s5, v7, 0x260
	v_fmac_f32_e32 v74, v80, v74
	v_div_scale_f32 v81, s4, v13, v9, v13
	v_add_nc_u32_e32 v80, -1, v67
	v_fma_f32 v70, -v70, v76, v78
	v_cndmask_b32_e64 v7, v68, v7, s5
	s_delay_alu instid0(VALU_DEP_4)
	v_mul_f32_e32 v79, v81, v74
	v_fma_f32 v84, -v82, v75, 1.0
	v_fma_f32 v68, -v80, v67, v4
	v_div_fmas_f32 v70, v70, v73, v76
	s_mov_b32 vcc_lo, s4
	v_fma_f32 v77, -v71, v79, v81
	v_fmac_f32_e32 v75, v84, v75
	v_cmp_gt_f32_e64 s5, 0xf800000, v2
	v_div_fixup_f32 v8, v70, v8, v12
	s_delay_alu instid0(VALU_DEP_4) | instskip(SKIP_1) | instid1(VALU_DEP_2)
	v_fmac_f32_e32 v79, v77, v74
	v_fma_f32 v77, -v72, v67, v4
	v_fma_f32 v71, -v71, v79, v81
	s_delay_alu instid0(VALU_DEP_2) | instskip(NEXT) | instid1(VALU_DEP_2)
	v_cmp_lt_f32_e64 s4, 0, v77
	v_div_fmas_f32 v71, v71, v74, v79
	v_cmp_ge_f32_e32 vcc_lo, 0, v68
	s_delay_alu instid0(VALU_DEP_2) | instskip(SKIP_2) | instid1(VALU_DEP_2)
	v_div_fixup_f32 v9, v71, v9, v13
	v_cndmask_b32_e32 v67, v67, v80, vcc_lo
	v_div_scale_f32 v68, vcc_lo, v14, v6, v14
	v_cndmask_b32_e64 v67, v67, v72, s4
	s_delay_alu instid0(VALU_DEP_1) | instskip(NEXT) | instid1(VALU_DEP_1)
	v_mul_f32_e32 v13, 0x37800000, v67
	v_cndmask_b32_e64 v12, v67, v13, s3
	v_cmp_class_f32_e64 s3, v4, 0x260
	v_mul_f32_e32 v13, 0x4f800000, v5
	s_delay_alu instid0(VALU_DEP_2) | instskip(SKIP_2) | instid1(VALU_DEP_3)
	v_cndmask_b32_e64 v4, v12, v4, s3
	v_add_f32_e32 v7, s20, v7
	v_cmp_gt_f32_e64 s3, 0xf800000, v5
	v_add_f32_e32 v4, s20, v4
	s_delay_alu instid0(VALU_DEP_3) | instskip(NEXT) | instid1(VALU_DEP_3)
	v_div_scale_f32 v72, null, v7, v7, v15
	v_cndmask_b32_e64 v5, v5, v13, s3
	v_div_scale_f32 v70, s4, v15, v7, v15
	s_delay_alu instid0(VALU_DEP_3) | instskip(SKIP_3) | instid1(VALU_DEP_1)
	v_rcp_f32_e32 v71, v72
	v_div_scale_f32 v67, null, v4, v4, v69
	s_waitcnt_depctr 0xfff
	v_fma_f32 v12, -v72, v71, 1.0
	v_fmac_f32_e32 v71, v12, v71
	v_sqrt_f32_e32 v12, v5
	s_waitcnt_depctr 0xfff
	v_dual_mul_f32 v73, v68, v75 :: v_dual_add_nc_u32 v76, -1, v12
	s_delay_alu instid0(VALU_DEP_1) | instskip(SKIP_1) | instid1(VALU_DEP_2)
	v_fma_f32 v74, -v82, v73, v68
	v_add_nc_u32_e32 v77, 1, v12
	v_fmac_f32_e32 v73, v74, v75
	s_delay_alu instid0(VALU_DEP_1) | instskip(SKIP_1) | instid1(VALU_DEP_2)
	v_fma_f32 v13, -v82, v73, v68
	v_mul_f32_e32 v68, 0x4f800000, v2
	v_div_fmas_f32 v13, v13, v75, v73
	v_fma_f32 v73, -v76, v12, v5
	v_fma_f32 v75, -v77, v12, v5
	s_delay_alu instid0(VALU_DEP_4) | instskip(SKIP_3) | instid1(VALU_DEP_3)
	v_cndmask_b32_e64 v2, v2, v68, s5
	v_rcp_f32_e32 v68, v67
	v_div_fixup_f32 v6, v13, v6, v14
	v_cmp_ge_f32_e32 vcc_lo, 0, v73
	v_sqrt_f32_e32 v78, v2
	v_cndmask_b32_e32 v12, v12, v76, vcc_lo
	v_cmp_lt_f32_e32 vcc_lo, 0, v75
	s_waitcnt_depctr 0xfff
	v_fma_f32 v76, -v67, v68, 1.0
	v_cndmask_b32_e32 v12, v12, v77, vcc_lo
	v_mul_f32_e32 v74, 0x4f800000, v3
	v_cmp_gt_f32_e64 s6, 0xf800000, v3
	v_add_nc_u32_e32 v80, -1, v78
	v_fmac_f32_e32 v68, v76, v68
	s_delay_alu instid0(VALU_DEP_3) | instskip(NEXT) | instid1(VALU_DEP_3)
	v_cndmask_b32_e64 v3, v3, v74, s6
	v_fma_f32 v81, -v80, v78, v2
	s_delay_alu instid0(VALU_DEP_2) | instskip(NEXT) | instid1(VALU_DEP_1)
	v_sqrt_f32_e32 v79, v3
	v_cmp_ge_f32_e32 vcc_lo, 0, v81
	s_waitcnt_depctr 0xfff
	v_add_nc_u32_e32 v81, 1, v79
	v_add_nc_u32_e32 v73, 1, v78
	v_add_nc_u32_e32 v77, -1, v79
	s_delay_alu instid0(VALU_DEP_2) | instskip(SKIP_1) | instid1(VALU_DEP_3)
	v_fma_f32 v75, -v73, v78, v2
	v_cndmask_b32_e32 v78, v78, v80, vcc_lo
	v_fma_f32 v82, -v77, v79, v3
	v_dual_mul_f32 v80, 0x37800000, v12 :: v_dual_mul_f32 v9, v9, v9
	v_mul_f32_e32 v74, v70, v71
	v_cmp_lt_f32_e32 vcc_lo, 0, v75
	v_fma_f32 v75, -v81, v79, v3
	s_delay_alu instid0(VALU_DEP_4) | instskip(SKIP_3) | instid1(VALU_DEP_2)
	v_cndmask_b32_e64 v12, v12, v80, s3
	v_fmac_f32_e32 v9, v8, v8
	v_cndmask_b32_e32 v73, v78, v73, vcc_lo
	v_cmp_ge_f32_e32 vcc_lo, 0, v82
	v_dual_fmac_f32 v9, v6, v6 :: v_dual_mul_f32 v78, 0x37800000, v73
	s_delay_alu instid0(VALU_DEP_1)
	v_cndmask_b32_e64 v73, v73, v78, s5
	v_cndmask_b32_e32 v77, v79, v77, vcc_lo
	v_cmp_class_f32_e64 vcc_lo, v5, 0x260
	v_cndmask_b32_e32 v5, v12, v5, vcc_lo
	v_cmp_lt_f32_e32 vcc_lo, 0, v75
	v_fma_f32 v75, -v72, v74, v70
	v_cndmask_b32_e32 v12, v77, v81, vcc_lo
	s_delay_alu instid0(VALU_DEP_2) | instskip(SKIP_1) | instid1(VALU_DEP_3)
	v_fmac_f32_e32 v74, v75, v71
	v_cmp_class_f32_e64 vcc_lo, v2, 0x260
	v_mul_f32_e32 v76, 0x37800000, v12
	s_delay_alu instid0(VALU_DEP_3) | instskip(SKIP_2) | instid1(VALU_DEP_4)
	v_fma_f32 v70, -v72, v74, v70
	v_cndmask_b32_e32 v2, v73, v2, vcc_lo
	v_cmp_class_f32_e64 vcc_lo, v3, 0x260
	v_cndmask_b32_e64 v12, v12, v76, s6
	v_div_scale_f32 v76, s3, v69, v4, v69
	s_delay_alu instid0(VALU_DEP_2) | instskip(SKIP_1) | instid1(VALU_DEP_1)
	v_dual_add_f32 v2, s20, v2 :: v_dual_cndmask_b32 v3, v12, v3
	s_mov_b32 vcc_lo, s4
	v_div_scale_f32 v12, null, v2, v2, v11
	v_div_fmas_f32 v70, v70, v71, v74
	v_div_scale_f32 v74, s4, v11, v2, v11
	s_delay_alu instid0(VALU_DEP_3) | instskip(SKIP_1) | instid1(VALU_DEP_2)
	v_rcp_f32_e32 v14, v12
	s_mov_b32 vcc_lo, s3
	v_div_fixup_f32 v7, v70, v7, v15
	s_delay_alu instid0(VALU_DEP_1) | instskip(SKIP_2) | instid1(VALU_DEP_1)
	v_fmac_f32_e32 v9, v7, v7
	s_waitcnt_depctr 0xfff
	v_fma_f32 v80, -v12, v14, 1.0
	v_dual_add_f32 v5, s20, v5 :: v_dual_fmac_f32 v14, v80, v14
	s_delay_alu instid0(VALU_DEP_1) | instskip(NEXT) | instid1(VALU_DEP_2)
	v_div_scale_f32 v73, null, v5, v5, v0
	v_mul_f32_e32 v70, v74, v14
	s_delay_alu instid0(VALU_DEP_2) | instskip(SKIP_2) | instid1(VALU_DEP_2)
	v_rcp_f32_e32 v77, v73
	v_add_f32_e32 v3, s20, v3
	v_mul_f32_e32 v13, v76, v68
	v_div_scale_f32 v72, null, v3, v3, v10
	s_delay_alu instid0(VALU_DEP_2) | instskip(SKIP_4) | instid1(VALU_DEP_2)
	v_fma_f32 v78, -v67, v13, v76
	s_waitcnt_depctr 0xfff
	v_fma_f32 v75, -v73, v77, 1.0
	v_rcp_f32_e32 v79, v72
	v_fmac_f32_e32 v13, v78, v68
	v_fmac_f32_e32 v77, v75, v77
	v_div_scale_f32 v75, s5, v0, v5, v0
	s_delay_alu instid0(VALU_DEP_3) | instskip(SKIP_1) | instid1(VALU_DEP_3)
	v_fma_f32 v15, -v67, v13, v76
	v_div_scale_f32 v76, s6, v10, v3, v10
	v_mul_f32_e32 v71, v75, v77
	s_delay_alu instid0(TRANS32_DEP_1) | instskip(NEXT) | instid1(VALU_DEP_4)
	v_fma_f32 v78, -v72, v79, 1.0
	v_div_fmas_f32 v13, v15, v68, v13
	v_fma_f32 v15, -v12, v70, v74
	s_mov_b32 vcc_lo, s5
	v_fma_f32 v67, -v73, v71, v75
	v_fmac_f32_e32 v79, v78, v79
	v_div_fixup_f32 v4, v13, v4, v69
	v_fmac_f32_e32 v70, v15, v14
	s_delay_alu instid0(VALU_DEP_4) | instskip(NEXT) | instid1(VALU_DEP_4)
	v_fmac_f32_e32 v71, v67, v77
	v_mul_f32_e32 v67, v76, v79
	s_delay_alu instid0(VALU_DEP_4) | instskip(NEXT) | instid1(VALU_DEP_3)
	v_fmac_f32_e32 v9, v4, v4
	v_fma_f32 v8, -v73, v71, v75
	s_delay_alu instid0(VALU_DEP_3) | instskip(NEXT) | instid1(VALU_DEP_2)
	v_fma_f32 v13, -v72, v67, v76
	v_div_fmas_f32 v6, v8, v77, v71
	v_fma_f32 v8, -v12, v70, v74
	s_delay_alu instid0(VALU_DEP_3) | instskip(SKIP_1) | instid1(VALU_DEP_3)
	v_fmac_f32_e32 v67, v13, v79
	s_mov_b32 vcc_lo, s4
	v_div_fixup_f32 v0, v6, v5, v0
	s_delay_alu instid0(VALU_DEP_3) | instskip(NEXT) | instid1(VALU_DEP_3)
	v_div_fmas_f32 v7, v8, v14, v70
	v_fma_f32 v5, -v72, v67, v76
	s_mov_b32 vcc_lo, s6
	s_delay_alu instid0(VALU_DEP_3) | instskip(NEXT) | instid1(VALU_DEP_3)
	v_fmac_f32_e32 v9, v0, v0
	v_div_fixup_f32 v2, v7, v2, v11
	s_delay_alu instid0(VALU_DEP_3) | instskip(NEXT) | instid1(VALU_DEP_2)
	v_div_fmas_f32 v4, v5, v79, v67
	v_fmac_f32_e32 v9, v2, v2
	s_delay_alu instid0(VALU_DEP_2) | instskip(SKIP_1) | instid1(VALU_DEP_2)
	v_div_fixup_f32 v0, v4, v3, v10
	v_sub_nc_u32_e64 v2, s13, v30 clamp
	v_fmac_f32_e32 v9, v0, v0
	s_delay_alu instid0(VALU_DEP_2) | instskip(SKIP_3) | instid1(VALU_DEP_1)
	v_cmp_lt_u32_e32 vcc_lo, v49, v2
	ds_bpermute_b32 v0, v48, v9
	s_waitcnt lgkmcnt(0)
	v_add_f32_e32 v0, v9, v0
	v_cndmask_b32_e32 v0, v9, v0, vcc_lo
	v_cmp_lt_u32_e32 vcc_lo, v51, v2
	ds_bpermute_b32 v3, v50, v0
	s_waitcnt lgkmcnt(0)
	v_add_f32_e32 v3, v0, v3
	s_delay_alu instid0(VALU_DEP_1) | instskip(SKIP_4) | instid1(VALU_DEP_1)
	v_cndmask_b32_e32 v0, v0, v3, vcc_lo
	v_cmp_lt_u32_e32 vcc_lo, v53, v2
	ds_bpermute_b32 v3, v52, v0
	s_waitcnt lgkmcnt(0)
	v_add_f32_e32 v3, v0, v3
	v_cndmask_b32_e32 v0, v0, v3, vcc_lo
	v_cmp_lt_u32_e32 vcc_lo, v55, v2
	ds_bpermute_b32 v3, v54, v0
	s_waitcnt lgkmcnt(0)
	v_add_f32_e32 v3, v0, v3
	s_delay_alu instid0(VALU_DEP_1) | instskip(SKIP_4) | instid1(VALU_DEP_1)
	v_cndmask_b32_e32 v0, v0, v3, vcc_lo
	v_cmp_lt_u32_e32 vcc_lo, v57, v2
	ds_bpermute_b32 v3, v56, v0
	s_waitcnt lgkmcnt(0)
	v_add_f32_e32 v3, v0, v3
	v_cndmask_b32_e32 v0, v0, v3, vcc_lo
	s_and_saveexec_b32 s3, s0
	s_cbranch_execz .LBB49_62
; %bb.61:                               ;   in Loop: Header=BB49_3 Depth=1
	ds_store_b32 v58, v0
.LBB49_62:                              ;   in Loop: Header=BB49_3 Depth=1
	s_or_b32 exec_lo, exec_lo, s3
	s_waitcnt lgkmcnt(0)
	s_barrier
	buffer_gl0_inv
	s_and_saveexec_b32 s4, s1
	s_cbranch_execz .LBB49_64
; %bb.63:                               ;   in Loop: Header=BB49_3 Depth=1
	ds_load_b32 v0, v35
	s_add_i32 s13, s13, 31
	s_delay_alu instid0(SALU_CYCLE_1) | instskip(NEXT) | instid1(SALU_CYCLE_1)
	s_lshr_b32 s5, s13, 5
	v_cmp_gt_u32_e32 vcc_lo, s5, v59
	v_cmp_gt_u32_e64 s3, s5, v61
	s_waitcnt lgkmcnt(0)
	ds_bpermute_b32 v2, v60, v0
	s_waitcnt lgkmcnt(0)
	v_add_f32_e32 v2, v0, v2
	s_delay_alu instid0(VALU_DEP_1) | instskip(SKIP_3) | instid1(VALU_DEP_1)
	v_cndmask_b32_e32 v2, v0, v2, vcc_lo
	ds_bpermute_b32 v3, v62, v2
	s_waitcnt lgkmcnt(0)
	v_add_f32_e32 v3, v2, v3
	v_cndmask_b32_e64 v2, v2, v3, s3
	v_cmp_gt_u32_e64 s3, s5, v63
	ds_bpermute_b32 v3, v64, v2
	s_waitcnt lgkmcnt(0)
	v_add_f32_e32 v3, v2, v3
	s_delay_alu instid0(VALU_DEP_1) | instskip(SKIP_4) | instid1(VALU_DEP_1)
	v_cndmask_b32_e64 v2, v2, v3, s3
	v_cmp_gt_u32_e64 s3, s5, v65
	ds_bpermute_b32 v3, v66, v2
	s_waitcnt lgkmcnt(0)
	v_add_f32_e32 v3, v2, v3
	v_cndmask_b32_e64 v2, v2, v3, s3
	s_delay_alu instid0(VALU_DEP_1)
	v_cndmask_b32_e32 v0, v0, v2, vcc_lo
.LBB49_64:                              ;   in Loop: Header=BB49_3 Depth=1
	s_or_b32 exec_lo, exec_lo, s4
	s_and_saveexec_b32 s3, s2
	s_cbranch_execz .LBB49_2
; %bb.65:                               ;   in Loop: Header=BB49_3 Depth=1
	v_bfrev_b32_e32 v4, 1
	s_mov_b32 s4, exec_lo
.LBB49_66:                              ;   Parent Loop BB49_3 Depth=1
                                        ; =>  This Inner Loop Header: Depth=2
	s_delay_alu instid0(SALU_CYCLE_1) | instskip(NEXT) | instid1(SALU_CYCLE_1)
	s_ctz_i32_b32 s5, s4
	v_readlane_b32 s6, v0, s5
	s_lshl_b32 s5, 1, s5
	s_delay_alu instid0(SALU_CYCLE_1) | instskip(NEXT) | instid1(SALU_CYCLE_1)
	s_and_not1_b32 s4, s4, s5
	s_cmp_lg_u32 s4, 0
	s_delay_alu instid0(VALU_DEP_1)
	v_add_f32_e32 v4, s6, v4
	s_cbranch_scc1 .LBB49_66
; %bb.67:                               ;   in Loop: Header=BB49_3 Depth=1
	v_mbcnt_lo_u32_b32 v0, exec_lo, 0
	s_mov_b32 s4, exec_lo
	s_delay_alu instid0(VALU_DEP_1)
	v_cmpx_eq_u32_e32 0, v0
	s_xor_b32 s4, exec_lo, s4
	s_cbranch_execz .LBB49_2
; %bb.68:                               ;   in Loop: Header=BB49_3 Depth=1
	global_load_b32 v3, v1, s[14:15]
	s_mov_b32 s4, 0
.LBB49_69:                              ;   Parent Loop BB49_3 Depth=1
                                        ; =>  This Inner Loop Header: Depth=2
	s_waitcnt vmcnt(0)
	v_add_f32_e32 v2, v3, v4
	global_atomic_cmpswap_b32 v0, v1, v[2:3], s[14:15] glc
	s_waitcnt vmcnt(0)
	v_cmp_eq_u32_e32 vcc_lo, v0, v3
	v_mov_b32_e32 v3, v0
	s_or_b32 s4, vcc_lo, s4
	s_delay_alu instid0(SALU_CYCLE_1)
	s_and_not1_b32 exec_lo, exec_lo, s4
	s_cbranch_execnz .LBB49_69
; %bb.70:                               ;   in Loop: Header=BB49_3 Depth=1
	s_or_b32 exec_lo, exec_lo, s4
	s_branch .LBB49_2
.LBB49_71:                              ;   in Loop: Header=BB49_3 Depth=1
	global_load_b32 v0, v[14:15], off
	v_mov_b32_e32 v7, v1
	v_mov_b32_e32 v2, v1
	;; [unrolled: 1-line block ×6, first 2 shown]
	s_waitcnt vmcnt(0)
	v_mov_b32_e32 v9, v7
	s_delay_alu instid0(VALU_DEP_2)
	v_dual_mov_b32 v8, v6 :: v_dual_mov_b32 v7, v5
	v_mov_b32_e32 v6, v4
	v_mov_b32_e32 v5, v3
	;; [unrolled: 1-line block ×5, first 2 shown]
	s_or_b32 exec_lo, exec_lo, s10
	s_and_saveexec_b32 s9, s7
	s_cbranch_execz .LBB49_21
.LBB49_72:                              ;   in Loop: Header=BB49_3 Depth=1
	global_load_b32 v3, v[14:15], off offset:128
	s_or_b32 exec_lo, exec_lo, s9
	s_and_saveexec_b32 s7, s8
	s_cbranch_execz .LBB49_22
.LBB49_73:                              ;   in Loop: Header=BB49_3 Depth=1
	global_load_b32 v4, v[14:15], off offset:256
	s_or_b32 exec_lo, exec_lo, s7
	s_and_saveexec_b32 s7, s5
	s_cbranch_execz .LBB49_23
.LBB49_74:                              ;   in Loop: Header=BB49_3 Depth=1
	global_load_b32 v5, v[14:15], off offset:384
	s_or_b32 exec_lo, exec_lo, s7
	s_and_saveexec_b32 s5, s6
	s_cbranch_execz .LBB49_24
.LBB49_75:                              ;   in Loop: Header=BB49_3 Depth=1
	global_load_b32 v6, v[14:15], off offset:512
	s_or_b32 exec_lo, exec_lo, s5
	s_and_saveexec_b32 s5, s3
	s_cbranch_execz .LBB49_25
.LBB49_76:                              ;   in Loop: Header=BB49_3 Depth=1
	global_load_b32 v7, v[14:15], off offset:640
	s_or_b32 exec_lo, exec_lo, s5
	s_and_saveexec_b32 s3, s4
	s_cbranch_execz .LBB49_26
.LBB49_77:                              ;   in Loop: Header=BB49_3 Depth=1
	global_load_b32 v8, v[14:15], off offset:768
	s_or_b32 exec_lo, exec_lo, s3
	s_and_saveexec_b32 s3, vcc_lo
	s_cbranch_execnz .LBB49_27
	s_branch .LBB49_28
.LBB49_78:
	s_endpgm
	.section	.rodata,"a",@progbits
	.p2align	6, 0x0
	.amdhsa_kernel _Z33kPreconditionOptimizer32bit1StateI12hip_bfloat16Li4ELi4096ELi8EEvPT_S2_PfS3_ffffiffi
		.amdhsa_group_segment_fixed_size 16896
		.amdhsa_private_segment_fixed_size 0
		.amdhsa_kernarg_size 320
		.amdhsa_user_sgpr_count 15
		.amdhsa_user_sgpr_dispatch_ptr 0
		.amdhsa_user_sgpr_queue_ptr 0
		.amdhsa_user_sgpr_kernarg_segment_ptr 1
		.amdhsa_user_sgpr_dispatch_id 0
		.amdhsa_user_sgpr_private_segment_size 0
		.amdhsa_wavefront_size32 1
		.amdhsa_uses_dynamic_stack 0
		.amdhsa_enable_private_segment 0
		.amdhsa_system_sgpr_workgroup_id_x 1
		.amdhsa_system_sgpr_workgroup_id_y 0
		.amdhsa_system_sgpr_workgroup_id_z 0
		.amdhsa_system_sgpr_workgroup_info 0
		.amdhsa_system_vgpr_workitem_id 0
		.amdhsa_next_free_vgpr 85
		.amdhsa_next_free_sgpr 32
		.amdhsa_reserve_vcc 1
		.amdhsa_float_round_mode_32 0
		.amdhsa_float_round_mode_16_64 0
		.amdhsa_float_denorm_mode_32 3
		.amdhsa_float_denorm_mode_16_64 3
		.amdhsa_dx10_clamp 1
		.amdhsa_ieee_mode 1
		.amdhsa_fp16_overflow 0
		.amdhsa_workgroup_processor_mode 1
		.amdhsa_memory_ordered 1
		.amdhsa_forward_progress 0
		.amdhsa_shared_vgpr_count 0
		.amdhsa_exception_fp_ieee_invalid_op 0
		.amdhsa_exception_fp_denorm_src 0
		.amdhsa_exception_fp_ieee_div_zero 0
		.amdhsa_exception_fp_ieee_overflow 0
		.amdhsa_exception_fp_ieee_underflow 0
		.amdhsa_exception_fp_ieee_inexact 0
		.amdhsa_exception_int_div_zero 0
	.end_amdhsa_kernel
	.section	.text._Z33kPreconditionOptimizer32bit1StateI12hip_bfloat16Li4ELi4096ELi8EEvPT_S2_PfS3_ffffiffi,"axG",@progbits,_Z33kPreconditionOptimizer32bit1StateI12hip_bfloat16Li4ELi4096ELi8EEvPT_S2_PfS3_ffffiffi,comdat
.Lfunc_end49:
	.size	_Z33kPreconditionOptimizer32bit1StateI12hip_bfloat16Li4ELi4096ELi8EEvPT_S2_PfS3_ffffiffi, .Lfunc_end49-_Z33kPreconditionOptimizer32bit1StateI12hip_bfloat16Li4ELi4096ELi8EEvPT_S2_PfS3_ffffiffi
                                        ; -- End function
	.section	.AMDGPU.csdata,"",@progbits
; Kernel info:
; codeLenInByte = 4992
; NumSgprs: 34
; NumVgprs: 85
; ScratchSize: 0
; MemoryBound: 0
; FloatMode: 240
; IeeeMode: 1
; LDSByteSize: 16896 bytes/workgroup (compile time only)
; SGPRBlocks: 4
; VGPRBlocks: 10
; NumSGPRsForWavesPerEU: 34
; NumVGPRsForWavesPerEU: 85
; Occupancy: 16
; WaveLimiterHint : 0
; COMPUTE_PGM_RSRC2:SCRATCH_EN: 0
; COMPUTE_PGM_RSRC2:USER_SGPR: 15
; COMPUTE_PGM_RSRC2:TRAP_HANDLER: 0
; COMPUTE_PGM_RSRC2:TGID_X_EN: 1
; COMPUTE_PGM_RSRC2:TGID_Y_EN: 0
; COMPUTE_PGM_RSRC2:TGID_Z_EN: 0
; COMPUTE_PGM_RSRC2:TIDIG_COMP_CNT: 0
	.section	.text._Z21kOptimizer32bit1StateI6__halfLi1EEvPT_S2_PfS3_ffffffiffbi,"axG",@progbits,_Z21kOptimizer32bit1StateI6__halfLi1EEvPT_S2_PfS3_ffffffiffbi,comdat
